;; amdgpu-corpus repo=ROCm/bitsandbytes kind=harvested arch=n/a opt=n/a
	.text
	.amdgcn_target "amdgcn-amd-amdhsa--gfx1100"
	.amdhsa_code_object_version 6
	.protected	_Z18kQuantizeBlockwiseI6__halfLi1024ELi4ELi0ELi0EEvPfPT_S1_PhS1_ii ; -- Begin function _Z18kQuantizeBlockwiseI6__halfLi1024ELi4ELi0ELi0EEvPfPT_S1_PhS1_ii
	.globl	_Z18kQuantizeBlockwiseI6__halfLi1024ELi4ELi0ELi0EEvPfPT_S1_PhS1_ii
	.p2align	8
	.type	_Z18kQuantizeBlockwiseI6__halfLi1024ELi4ELi0ELi0EEvPfPT_S1_PhS1_ii,@function
_Z18kQuantizeBlockwiseI6__halfLi1024ELi4ELi0ELi0EEvPfPT_S1_PhS1_ii: ; @_Z18kQuantizeBlockwiseI6__halfLi1024ELi4ELi0ELi0EEvPfPT_S1_PhS1_ii
; %bb.0:
	s_clause 0x1
	s_load_b64 s[4:5], s[0:1], 0x8
	s_load_b32 s6, s[0:1], 0x30
	v_lshlrev_b32_e32 v3, 2, v0
	s_add_u32 s2, s0, 48
	s_addc_u32 s3, s1, 0
	s_mov_b32 s7, exec_lo
	v_cmpx_gt_u32_e32 0x100, v0
	s_cbranch_execz .LBB99_3
; %bb.1:
	s_load_b64 s[8:9], s[0:1], 0x0
	s_load_b32 s2, s[2:3], 0xc
	v_dual_mov_b32 v5, v0 :: v_dual_add_nc_u32 v4, 0xc60, v3
	s_waitcnt lgkmcnt(0)
	v_add_co_u32 v1, s3, s8, v3
	s_delay_alu instid0(VALU_DEP_1)
	v_add_co_ci_u32_e64 v2, null, s9, 0, s3
	s_and_b32 s3, s2, 0xffff
	s_mov_b32 s8, 0
	s_lshl_b32 s9, s3, 2
.LBB99_2:                               ; =>This Inner Loop Header: Depth=1
	global_load_b32 v6, v[1:2], off
	v_add_nc_u32_e32 v5, s3, v5
	v_add_co_u32 v1, vcc_lo, v1, s9
	v_add_co_ci_u32_e32 v2, vcc_lo, 0, v2, vcc_lo
	s_delay_alu instid0(VALU_DEP_3) | instskip(NEXT) | instid1(VALU_DEP_1)
	v_cmp_lt_u32_e64 s2, 0xff, v5
	s_or_b32 s8, s2, s8
	s_waitcnt vmcnt(0)
	ds_store_b32 v4, v6
	v_add_nc_u32_e32 v4, s9, v4
	s_and_not1_b32 exec_lo, exec_lo, s8
	s_cbranch_execnz .LBB99_2
.LBB99_3:
	s_or_b32 exec_lo, exec_lo, s7
	s_waitcnt lgkmcnt(0)
	s_lshl_b32 s18, s6, 10
	s_lshl_b32 s16, s15, 10
	s_delay_alu instid0(SALU_CYCLE_1)
	s_cmp_ge_i32 s16, s18
	s_cbranch_scc1 .LBB99_68
; %bb.4:
	v_mbcnt_lo_u32_b32 v1, -1, 0
	v_dual_mov_b32 v43, 0 :: v_dual_and_b32 v2, 0xf80, v3
	s_clause 0x1
	s_load_b128 s[12:15], s[0:1], 0x10
	s_load_b32 s3, s[0:1], 0x2c
	v_and_b32_e32 v6, 0x3e0, v0
	v_dual_mov_b32 v46, 0xff :: v_dual_lshlrev_b32 v3, 1, v1
	v_lshlrev_b32_e32 v4, 1, v2
	v_and_b32_e32 v37, 7, v1
	v_or_b32_e32 v7, v1, v2
	s_delay_alu instid0(VALU_DEP_4) | instskip(NEXT) | instid1(VALU_DEP_1)
	v_add_co_u32 v3, s0, s4, v3
	v_add_co_ci_u32_e64 v10, null, s5, 0, s0
	v_lshrrev_b32_e32 v5, 5, v2
	s_delay_alu instid0(VALU_DEP_3) | instskip(NEXT) | instid1(VALU_DEP_3)
	v_add_co_u32 v9, vcc_lo, v3, v4
	v_add_co_ci_u32_e32 v10, vcc_lo, 0, v10, vcc_lo
	v_cmp_gt_u32_e32 vcc_lo, 30, v1
	v_or_b32_e32 v8, 32, v7
	v_or_b32_e32 v3, v1, v6
	;; [unrolled: 1-line block ×4, first 2 shown]
	v_cndmask_b32_e64 v20, 0, 1, vcc_lo
	v_cmp_ne_u32_e32 vcc_lo, 31, v1
	v_add_nc_u32_e32 v12, v5, v7
	v_add_nc_u32_e32 v13, v5, v8
	v_bfe_u32 v5, v3, 3, 27
	v_lshrrev_b32_e32 v36, 5, v14
	v_add_co_ci_u32_e32 v21, vcc_lo, 0, v1, vcc_lo
	v_cmp_gt_u32_e32 vcc_lo, 28, v1
	v_lshlrev_b32_e32 v22, 1, v20
	v_lshrrev_b32_e32 v28, 3, v0
	v_lshrrev_b32_e32 v4, 5, v11
	v_lshlrev_b32_e32 v3, 2, v3
	v_cndmask_b32_e64 v23, 0, 1, vcc_lo
	v_cmp_gt_u32_e32 vcc_lo, 24, v1
	v_and_b32_e32 v19, 0x7e, v5
	v_and_b32_e32 v5, 0x7c, v5
	v_add_lshl_u32 v17, v36, v14, 1
	v_lshlrev_b32_e32 v25, 2, v23
	v_cndmask_b32_e64 v24, 0, 1, vcc_lo
	v_cmp_gt_u32_e32 vcc_lo, 16, v1
	v_lshlrev_b32_e32 v20, 2, v21
	v_add_nc_u32_e32 v21, 1, v1
	v_add_lshl_u32 v22, v22, v1, 2
	v_lshlrev_b32_e32 v27, 3, v24
	v_cndmask_b32_e64 v26, 0, 1, vcc_lo
	v_cmp_gt_u32_e32 vcc_lo, 6, v37
	v_add_nc_u32_e32 v23, 2, v1
	v_add_lshl_u32 v24, v25, v1, 2
	v_add_nc_u32_e32 v25, 4, v1
	v_lshlrev_b32_e32 v29, 4, v26
	v_cndmask_b32_e64 v32, 0, 1, vcc_lo
	v_cmp_ne_u32_e32 vcc_lo, 7, v37
	v_add_lshl_u32 v26, v27, v1, 2
	v_add_nc_u32_e32 v27, 8, v1
	v_and_b32_e32 v30, 0x7c, v28
	v_lshlrev_b32_e32 v35, 1, v32
	v_add_co_ci_u32_e32 v33, vcc_lo, 0, v1, vcc_lo
	v_cmp_gt_u32_e32 vcc_lo, 4, v37
	v_add_lshl_u32 v28, v29, v1, 2
	v_add_nc_u32_e32 v29, 16, v1
	v_cmp_eq_u32_e64 s0, 0, v1
	v_lshl_add_u32 v31, v1, 2, 0x1060
	v_cndmask_b32_e64 v34, 0, 1, vcc_lo
	v_add_lshl_u32 v35, v35, v1, 2
	v_and_b32_e32 v39, 0x7c, v36
	v_and_b32_e32 v18, 0x7e, v4
	v_add_lshl_u32 v19, v19, v3, 1
	v_lshlrev_b32_e32 v38, 2, v34
	v_cmp_gt_u32_e64 s1, 8, v0
	v_cmp_eq_u32_e64 s2, 0, v0
	v_and_b32_e32 v0, 0x7c, v4
	v_lshlrev_b32_e32 v15, 1, v12
	v_add_lshl_u32 v36, v38, v1, 2
	s_waitcnt lgkmcnt(0)
	v_add_co_u32 v1, s4, s14, v1
	v_add_nc_u32_e32 v38, v5, v3
	v_add_co_ci_u32_e64 v3, null, s15, 0, s4
	s_delay_alu instid0(VALU_DEP_3)
	v_add_co_u32 v41, vcc_lo, v1, v2
	v_lshlrev_b32_e32 v16, 1, v13
	v_add_lshl_u32 v18, v18, v11, 1
	v_add_nc_u32_e32 v30, 0x1060, v30
	v_add_nc_u32_e32 v32, 1, v37
	v_lshlrev_b32_e32 v33, 2, v33
	v_add_nc_u32_e32 v34, 2, v37
	v_add_nc_u32_e32 v37, 4, v37
	;; [unrolled: 1-line block ×4, first 2 shown]
	v_add_co_ci_u32_e32 v42, vcc_lo, 0, v3, vcc_lo
	v_add_nc_u32_e64 v44, 0x1000, 0
	v_add_nc_u32_e64 v45, 0xc00, 0
	s_sub_i32 s14, s3, s16
	s_branch .LBB99_6
.LBB99_5:                               ;   in Loop: Header=BB99_6 Depth=1
	s_or_b32 exec_lo, exec_lo, s3
	s_add_i32 s16, s16, s18
	s_sub_i32 s14, s14, s18
	s_cmp_ge_i32 s16, s18
	s_cbranch_scc1 .LBB99_68
.LBB99_6:                               ; =>This Inner Loop Header: Depth=1
	s_ashr_i32 s17, s16, 31
	s_min_i32 s15, s14, 0x400
	s_lshl_b64 s[4:5], s[16:17], 1
	v_cmp_gt_u32_e64 s3, s15, v7
	v_add_co_u32 v0, vcc_lo, v9, s4
	v_add_co_ci_u32_e32 v1, vcc_lo, s5, v10, vcc_lo
	s_waitcnt lgkmcnt(0)
	v_mov_b32_e32 v2, 0
	s_waitcnt_vscnt null, 0x0
	s_barrier
	buffer_gl0_inv
	s_and_saveexec_b32 s4, s3
	s_cbranch_execz .LBB99_8
; %bb.7:                                ;   in Loop: Header=BB99_6 Depth=1
	global_load_u16 v2, v[0:1], off
.LBB99_8:                               ;   in Loop: Header=BB99_6 Depth=1
	s_or_b32 exec_lo, exec_lo, s4
	v_cmp_gt_u32_e64 s4, s15, v8
	v_dual_mov_b32 v3, 0 :: v_dual_mov_b32 v4, 0
	s_delay_alu instid0(VALU_DEP_2)
	s_and_saveexec_b32 s5, s4
	s_cbranch_execz .LBB99_10
; %bb.9:                                ;   in Loop: Header=BB99_6 Depth=1
	global_load_u16 v4, v[0:1], off offset:64
.LBB99_10:                              ;   in Loop: Header=BB99_6 Depth=1
	s_or_b32 exec_lo, exec_lo, s5
	v_cmp_gt_u32_e64 s5, s15, v14
	s_delay_alu instid0(VALU_DEP_1)
	s_and_saveexec_b32 s6, s5
	s_cbranch_execz .LBB99_12
; %bb.11:                               ;   in Loop: Header=BB99_6 Depth=1
	global_load_u16 v3, v[0:1], off offset:128
.LBB99_12:                              ;   in Loop: Header=BB99_6 Depth=1
	s_or_b32 exec_lo, exec_lo, s6
	v_cmp_gt_u32_e64 s6, s15, v11
	v_mov_b32_e32 v5, 0
	s_delay_alu instid0(VALU_DEP_2)
	s_and_saveexec_b32 s7, s6
	s_cbranch_execz .LBB99_14
; %bb.13:                               ;   in Loop: Header=BB99_6 Depth=1
	global_load_u16 v5, v[0:1], off offset:192
.LBB99_14:                              ;   in Loop: Header=BB99_6 Depth=1
	s_or_b32 exec_lo, exec_lo, s7
	s_waitcnt vmcnt(0)
	ds_store_b16 v15, v2
	ds_store_b16 v16, v4
	;; [unrolled: 1-line block ×4, first 2 shown]
	; wave barrier
	ds_load_b64 v[4:5], v19
	s_waitcnt lgkmcnt(0)
	v_lshrrev_b32_e32 v48, 16, v4
	v_lshrrev_b32_e32 v47, 16, v5
	v_cvt_f32_f16_e64 v0, |v4|
	v_cvt_f32_f16_e64 v2, |v5|
	s_delay_alu instid0(VALU_DEP_4) | instskip(NEXT) | instid1(VALU_DEP_4)
	v_cvt_f32_f16_e64 v1, |v48|
	v_cvt_f32_f16_e64 v3, |v47|
	s_delay_alu instid0(VALU_DEP_2) | instskip(NEXT) | instid1(VALU_DEP_1)
	v_max3_f32 v0, v0, 0xff7fffff, v1
	v_max3_f32 v0, v0, v2, v3
	v_sub_nc_u32_e64 v2, s15, v6 clamp
	ds_bpermute_b32 v1, v20, v0
	v_cmp_lt_u32_e64 s10, v29, v2
	s_waitcnt lgkmcnt(0)
	v_cmp_lt_f32_e32 vcc_lo, v0, v1
	v_cndmask_b32_e32 v1, v0, v1, vcc_lo
	v_cmp_lt_u32_e32 vcc_lo, v21, v2
	s_delay_alu instid0(VALU_DEP_2) | instskip(SKIP_3) | instid1(VALU_DEP_1)
	v_cndmask_b32_e32 v1, v0, v1, vcc_lo
	ds_bpermute_b32 v3, v22, v1
	s_waitcnt lgkmcnt(0)
	v_cmp_lt_f32_e64 s7, v1, v3
	v_cndmask_b32_e64 v3, v1, v3, s7
	v_cmp_lt_u32_e64 s7, v23, v2
	s_delay_alu instid0(VALU_DEP_1) | instskip(SKIP_4) | instid1(VALU_DEP_1)
	v_cndmask_b32_e64 v1, v1, v3, s7
	s_or_b32 s7, vcc_lo, s7
	ds_bpermute_b32 v3, v24, v1
	s_waitcnt lgkmcnt(0)
	v_cmp_lt_f32_e64 s8, v1, v3
	v_cndmask_b32_e64 v3, v1, v3, s8
	v_cmp_lt_u32_e64 s8, v25, v2
	s_delay_alu instid0(VALU_DEP_1) | instskip(SKIP_4) | instid1(VALU_DEP_1)
	v_cndmask_b32_e64 v1, v1, v3, s8
	s_or_b32 s7, s8, s7
	ds_bpermute_b32 v3, v26, v1
	s_waitcnt lgkmcnt(0)
	v_cmp_lt_f32_e64 s9, v1, v3
	v_cndmask_b32_e64 v3, v1, v3, s9
	v_cmp_lt_u32_e64 s9, v27, v2
	s_delay_alu instid0(VALU_DEP_1) | instskip(SKIP_4) | instid1(VALU_DEP_1)
	v_cndmask_b32_e64 v1, v1, v3, s9
	s_or_b32 s7, s9, s7
	ds_bpermute_b32 v3, v28, v1
	s_waitcnt lgkmcnt(0)
	v_cmp_lt_f32_e64 s11, v1, v3
	s_and_b32 vcc_lo, s10, s11
	v_cndmask_b32_e32 v1, v1, v3, vcc_lo
	s_or_b32 vcc_lo, s10, s7
	s_delay_alu instid0(VALU_DEP_1)
	v_cndmask_b32_e32 v0, v0, v1, vcc_lo
	s_and_saveexec_b32 s7, s0
	s_cbranch_execz .LBB99_16
; %bb.15:                               ;   in Loop: Header=BB99_6 Depth=1
	ds_store_b32 v30, v0
.LBB99_16:                              ;   in Loop: Header=BB99_6 Depth=1
	s_or_b32 exec_lo, exec_lo, s7
	s_waitcnt lgkmcnt(0)
	s_barrier
	buffer_gl0_inv
	s_and_saveexec_b32 s9, s1
	s_cbranch_execz .LBB99_18
; %bb.17:                               ;   in Loop: Header=BB99_6 Depth=1
	ds_load_b32 v0, v31
	s_add_i32 s15, s15, 31
	s_delay_alu instid0(SALU_CYCLE_1)
	s_lshr_b32 s8, s15, 5
	s_waitcnt lgkmcnt(0)
	ds_bpermute_b32 v1, v33, v0
	s_waitcnt lgkmcnt(0)
	v_cmp_lt_f32_e32 vcc_lo, v0, v1
	v_cndmask_b32_e32 v1, v0, v1, vcc_lo
	v_cmp_gt_u32_e32 vcc_lo, s8, v32
	s_delay_alu instid0(VALU_DEP_2) | instskip(SKIP_3) | instid1(VALU_DEP_1)
	v_cndmask_b32_e32 v2, v0, v1, vcc_lo
	ds_bpermute_b32 v3, v35, v2
	s_waitcnt lgkmcnt(0)
	v_cmp_lt_f32_e64 s7, v2, v3
	v_cndmask_b32_e64 v3, v2, v3, s7
	v_cmp_gt_u32_e64 s7, s8, v34
	s_delay_alu instid0(VALU_DEP_1)
	v_cndmask_b32_e64 v2, v2, v3, s7
	v_cndmask_b32_e64 v1, v1, v3, s7
	v_cmp_gt_u32_e64 s7, s8, v37
	ds_bpermute_b32 v2, v36, v2
	s_waitcnt lgkmcnt(0)
	v_cmp_lt_f32_e64 s8, v1, v2
	s_delay_alu instid0(VALU_DEP_1) | instskip(NEXT) | instid1(SALU_CYCLE_1)
	s_and_b32 s7, s7, s8
	v_cndmask_b32_e64 v1, v1, v2, s7
	s_delay_alu instid0(VALU_DEP_1)
	v_cndmask_b32_e32 v0, v0, v1, vcc_lo
.LBB99_18:                              ;   in Loop: Header=BB99_6 Depth=1
	s_or_b32 exec_lo, exec_lo, s9
	s_and_saveexec_b32 s7, s2
	s_cbranch_execz .LBB99_20
; %bb.19:                               ;   in Loop: Header=BB99_6 Depth=1
	s_delay_alu instid0(VALU_DEP_1) | instskip(SKIP_2) | instid1(VALU_DEP_2)
	v_div_scale_f32 v1, null, v0, v0, 1.0
	v_div_scale_f32 v49, vcc_lo, 1.0, v0, 1.0
	s_ashr_i32 s8, s16, 10
	v_rcp_f32_e32 v2, v1
	s_ashr_i32 s9, s8, 31
	s_delay_alu instid0(SALU_CYCLE_1) | instskip(NEXT) | instid1(SALU_CYCLE_1)
	s_lshl_b64 s[8:9], s[8:9], 2
	s_add_u32 s8, s12, s8
	s_addc_u32 s9, s13, s9
	global_store_b32 v43, v0, s[8:9]
	v_fma_f32 v3, -v1, v2, 1.0
	s_delay_alu instid0(VALU_DEP_1) | instskip(NEXT) | instid1(VALU_DEP_1)
	v_fmac_f32_e32 v2, v3, v2
	v_mul_f32_e32 v3, v49, v2
	s_delay_alu instid0(VALU_DEP_1) | instskip(NEXT) | instid1(VALU_DEP_1)
	v_fma_f32 v50, -v1, v3, v49
	v_fmac_f32_e32 v3, v50, v2
	s_delay_alu instid0(VALU_DEP_1) | instskip(NEXT) | instid1(VALU_DEP_1)
	v_fma_f32 v1, -v1, v3, v49
	v_div_fmas_f32 v1, v1, v2, v3
	s_delay_alu instid0(VALU_DEP_1)
	v_div_fixup_f32 v1, v1, v0, 1.0
	ds_store_b32 v43, v1 offset:4224
.LBB99_20:                              ;   in Loop: Header=BB99_6 Depth=1
	s_or_b32 exec_lo, exec_lo, s7
	s_waitcnt lgkmcnt(0)
	s_waitcnt_vscnt null, 0x0
	s_barrier
	buffer_gl0_inv
	ds_load_2addr_b32 v[0:1], v44 offset0:23 offset1:32
	ds_load_2addr_b32 v[2:3], v45 offset0:24 offset1:151
	v_cvt_f32_f16_e32 v4, v4
	s_mov_b32 s9, exec_lo
	s_waitcnt lgkmcnt(1)
	s_delay_alu instid0(VALU_DEP_1) | instskip(SKIP_1) | instid1(VALU_DEP_1)
	v_mul_f32_e32 v49, v1, v4
	s_waitcnt lgkmcnt(0)
	v_cmp_lt_f32_e32 vcc_lo, v3, v49
	v_cndmask_b32_e64 v54, 63, 0xbf, vcc_lo
	v_cndmask_b32_e64 v50, 0, 0x7f, vcc_lo
	s_delay_alu instid0(VALU_DEP_2) | instskip(SKIP_4) | instid1(VALU_DEP_1)
	v_dual_cndmask_b32 v57, -1.0, v3 :: v_dual_lshlrev_b32 v4, 2, v54
	ds_load_b32 v56, v4 offset:3168
	v_add_nc_u32_e32 v4, 0xc60, v4
	s_waitcnt lgkmcnt(0)
	v_cmp_lt_f32_e64 s7, v56, v49
	v_cndmask_b32_e64 v51, 0xffffffe0, 32, s7
	v_cndmask_b32_e64 v55, v50, v54, s7
	v_cndmask_b32_e64 v57, v57, v56, s7
	s_delay_alu instid0(VALU_DEP_3)
	v_lshl_add_u32 v52, v51, 2, v4
	v_add_nc_u32_e32 v51, v54, v51
	v_mov_b32_e32 v53, -16
	ds_load_b32 v4, v52
	v_mov_b32_e32 v50, v51
	s_waitcnt lgkmcnt(0)
	v_cmpx_lt_f32_e32 v4, v49
; %bb.21:                               ;   in Loop: Header=BB99_6 Depth=1
	v_cndmask_b32_e64 v50, v3, 1.0, vcc_lo
	v_mov_b32_e32 v55, v51
	v_mov_b32_e32 v57, v4
	s_delay_alu instid0(VALU_DEP_3) | instskip(NEXT) | instid1(VALU_DEP_1)
	v_cndmask_b32_e64 v56, v56, v50, s7
	v_dual_cndmask_b32 v53, 0x7f, v46 :: v_dual_mov_b32 v4, v56
	s_delay_alu instid0(VALU_DEP_1)
	v_cndmask_b32_e64 v50, v54, v53, s7
	v_mov_b32_e32 v53, 16
; %bb.22:                               ;   in Loop: Header=BB99_6 Depth=1
	s_or_b32 exec_lo, exec_lo, s9
	s_delay_alu instid0(VALU_DEP_1)
	v_lshl_add_u32 v52, v53, 2, v52
	v_add_nc_u32_e32 v59, v53, v51
	s_mov_b32 s8, exec_lo
	ds_load_b32 v58, v52
	s_waitcnt lgkmcnt(0)
	v_cmp_lt_f32_e32 vcc_lo, v58, v49
	v_cndmask_b32_e64 v56, -8, 8, vcc_lo
	v_cndmask_b32_e32 v57, v57, v58, vcc_lo
	s_delay_alu instid0(VALU_DEP_2)
	v_lshl_add_u32 v54, v56, 2, v52
	v_dual_mov_b32 v56, -4 :: v_dual_add_nc_u32 v51, v56, v59
	v_cndmask_b32_e32 v55, v55, v59, vcc_lo
	ds_load_b32 v52, v54
	v_mov_b32_e32 v53, v51
	s_waitcnt lgkmcnt(0)
	v_cmpx_lt_f32_e32 v52, v49
; %bb.23:                               ;   in Loop: Header=BB99_6 Depth=1
	v_dual_cndmask_b32 v4, v58, v4 :: v_dual_cndmask_b32 v53, v59, v50
	v_dual_mov_b32 v56, 4 :: v_dual_mov_b32 v55, v51
	v_mov_b32_e32 v57, v52
	s_delay_alu instid0(VALU_DEP_3)
	v_mov_b32_e32 v52, v4
; %bb.24:                               ;   in Loop: Header=BB99_6 Depth=1
	s_or_b32 exec_lo, exec_lo, s8
	s_delay_alu instid0(VALU_DEP_3)
	v_lshl_add_u32 v4, v56, 2, v54
	v_add_nc_u32_e32 v60, v56, v51
	s_mov_b32 s8, exec_lo
	ds_load_b32 v59, v4
	s_waitcnt lgkmcnt(0)
	v_cmp_lt_f32_e32 vcc_lo, v59, v49
	v_cndmask_b32_e64 v54, -2, 2, vcc_lo
	s_delay_alu instid0(VALU_DEP_1)
	v_lshl_add_u32 v4, v54, 2, v4
	v_add_nc_u32_e32 v56, v54, v60
	v_dual_cndmask_b32 v54, v55, v60 :: v_dual_cndmask_b32 v55, v57, v59
	v_mov_b32_e32 v58, -1
	ds_load_b32 v50, v4
	v_mov_b32_e32 v51, v56
	s_waitcnt lgkmcnt(0)
	v_cmpx_lt_f32_e32 v50, v49
; %bb.25:                               ;   in Loop: Header=BB99_6 Depth=1
	v_dual_cndmask_b32 v52, v59, v52 :: v_dual_cndmask_b32 v51, v60, v53
	v_dual_mov_b32 v58, 1 :: v_dual_mov_b32 v55, v50
	v_mov_b32_e32 v54, v56
	s_delay_alu instid0(VALU_DEP_3)
	v_mov_b32_e32 v50, v52
; %bb.26:                               ;   in Loop: Header=BB99_6 Depth=1
	s_or_b32 exec_lo, exec_lo, s8
	s_delay_alu instid0(VALU_DEP_3)
	v_lshl_add_u32 v4, v58, 2, v4
	v_add_nc_u32_e32 v52, v58, v56
	s_mov_b32 s7, exec_lo
	ds_load_b32 v53, v4
                                        ; implicit-def: $vgpr4
	s_waitcnt lgkmcnt(0)
	v_cmpx_nlt_f32_e32 v53, v49
	s_xor_b32 s7, exec_lo, s7
; %bb.27:                               ;   in Loop: Header=BB99_6 Depth=1
	v_cmp_eq_u32_e32 vcc_lo, 0, v54
                                        ; implicit-def: $vgpr51
                                        ; implicit-def: $vgpr50
	v_cndmask_b32_e32 v4, v55, v2, vcc_lo
	s_delay_alu instid0(VALU_DEP_1) | instskip(NEXT) | instid1(VALU_DEP_1)
	v_add_f32_e32 v4, v53, v4
                                        ; implicit-def: $vgpr53
	v_mul_f32_e32 v4, 0.5, v4
	s_delay_alu instid0(VALU_DEP_1)
	v_cmp_gt_f32_e32 vcc_lo, v4, v49
                                        ; implicit-def: $vgpr49
	v_cndmask_b32_e32 v4, v52, v54, vcc_lo
                                        ; implicit-def: $vgpr52
; %bb.28:                               ;   in Loop: Header=BB99_6 Depth=1
	s_and_not1_saveexec_b32 s7, s7
; %bb.29:                               ;   in Loop: Header=BB99_6 Depth=1
	v_cmp_eq_u32_e32 vcc_lo, 0xff, v51
	v_cndmask_b32_e32 v4, v50, v0, vcc_lo
	s_delay_alu instid0(VALU_DEP_1) | instskip(NEXT) | instid1(VALU_DEP_1)
	v_add_f32_e32 v4, v53, v4
	v_mul_f32_e32 v4, 0.5, v4
	s_delay_alu instid0(VALU_DEP_1)
	v_cmp_lt_f32_e32 vcc_lo, v4, v49
	v_cndmask_b32_e32 v4, v52, v51, vcc_lo
; %bb.30:                               ;   in Loop: Header=BB99_6 Depth=1
	s_or_b32 exec_lo, exec_lo, s7
	v_cvt_f32_f16_e32 v48, v48
	s_mov_b32 s9, exec_lo
	s_delay_alu instid0(VALU_DEP_1) | instskip(NEXT) | instid1(VALU_DEP_1)
	v_mul_f32_e32 v49, v1, v48
	v_cmp_lt_f32_e32 vcc_lo, v3, v49
	v_cndmask_b32_e64 v54, 63, 0xbf, vcc_lo
	v_cndmask_b32_e64 v50, 0, 0x7f, vcc_lo
	s_delay_alu instid0(VALU_DEP_2) | instskip(SKIP_4) | instid1(VALU_DEP_1)
	v_dual_cndmask_b32 v57, -1.0, v3 :: v_dual_lshlrev_b32 v48, 2, v54
	ds_load_b32 v56, v48 offset:3168
	v_add_nc_u32_e32 v48, 0xc60, v48
	s_waitcnt lgkmcnt(0)
	v_cmp_lt_f32_e64 s7, v56, v49
	v_cndmask_b32_e64 v51, 0xffffffe0, 32, s7
	v_cndmask_b32_e64 v55, v50, v54, s7
	;; [unrolled: 1-line block ×3, first 2 shown]
	s_delay_alu instid0(VALU_DEP_3)
	v_lshl_add_u32 v52, v51, 2, v48
	v_add_nc_u32_e32 v51, v54, v51
	v_mov_b32_e32 v53, -16
	ds_load_b32 v48, v52
	v_mov_b32_e32 v50, v51
	s_waitcnt lgkmcnt(0)
	v_cmpx_lt_f32_e32 v48, v49
; %bb.31:                               ;   in Loop: Header=BB99_6 Depth=1
	v_cndmask_b32_e64 v50, v3, 1.0, vcc_lo
	v_mov_b32_e32 v55, v51
	v_mov_b32_e32 v57, v48
	s_delay_alu instid0(VALU_DEP_3) | instskip(NEXT) | instid1(VALU_DEP_1)
	v_cndmask_b32_e64 v56, v56, v50, s7
	v_dual_cndmask_b32 v53, 0x7f, v46 :: v_dual_mov_b32 v48, v56
	s_delay_alu instid0(VALU_DEP_1)
	v_cndmask_b32_e64 v50, v54, v53, s7
	v_mov_b32_e32 v53, 16
; %bb.32:                               ;   in Loop: Header=BB99_6 Depth=1
	s_or_b32 exec_lo, exec_lo, s9
	s_delay_alu instid0(VALU_DEP_1)
	v_lshl_add_u32 v52, v53, 2, v52
	v_add_nc_u32_e32 v59, v53, v51
	s_mov_b32 s8, exec_lo
	ds_load_b32 v58, v52
	s_waitcnt lgkmcnt(0)
	v_cmp_lt_f32_e32 vcc_lo, v58, v49
	v_cndmask_b32_e64 v56, -8, 8, vcc_lo
	v_cndmask_b32_e32 v57, v57, v58, vcc_lo
	s_delay_alu instid0(VALU_DEP_2)
	v_lshl_add_u32 v54, v56, 2, v52
	v_dual_mov_b32 v56, -4 :: v_dual_add_nc_u32 v51, v56, v59
	v_cndmask_b32_e32 v55, v55, v59, vcc_lo
	ds_load_b32 v52, v54
	v_mov_b32_e32 v53, v51
	s_waitcnt lgkmcnt(0)
	v_cmpx_lt_f32_e32 v52, v49
; %bb.33:                               ;   in Loop: Header=BB99_6 Depth=1
	v_dual_cndmask_b32 v48, v58, v48 :: v_dual_cndmask_b32 v53, v59, v50
	v_dual_mov_b32 v56, 4 :: v_dual_mov_b32 v55, v51
	v_mov_b32_e32 v57, v52
	s_delay_alu instid0(VALU_DEP_3)
	v_mov_b32_e32 v52, v48
; %bb.34:                               ;   in Loop: Header=BB99_6 Depth=1
	s_or_b32 exec_lo, exec_lo, s8
	s_delay_alu instid0(VALU_DEP_3)
	v_lshl_add_u32 v48, v56, 2, v54
	v_add_nc_u32_e32 v60, v56, v51
	s_mov_b32 s8, exec_lo
	ds_load_b32 v59, v48
	s_waitcnt lgkmcnt(0)
	v_cmp_lt_f32_e32 vcc_lo, v59, v49
	v_cndmask_b32_e64 v54, -2, 2, vcc_lo
	s_delay_alu instid0(VALU_DEP_1)
	v_lshl_add_u32 v48, v54, 2, v48
	v_add_nc_u32_e32 v56, v54, v60
	v_dual_cndmask_b32 v54, v55, v60 :: v_dual_cndmask_b32 v55, v57, v59
	v_mov_b32_e32 v58, -1
	ds_load_b32 v50, v48
	v_mov_b32_e32 v51, v56
	s_waitcnt lgkmcnt(0)
	v_cmpx_lt_f32_e32 v50, v49
; %bb.35:                               ;   in Loop: Header=BB99_6 Depth=1
	v_dual_cndmask_b32 v52, v59, v52 :: v_dual_cndmask_b32 v51, v60, v53
	v_dual_mov_b32 v58, 1 :: v_dual_mov_b32 v55, v50
	v_mov_b32_e32 v54, v56
	s_delay_alu instid0(VALU_DEP_3)
	v_mov_b32_e32 v50, v52
; %bb.36:                               ;   in Loop: Header=BB99_6 Depth=1
	s_or_b32 exec_lo, exec_lo, s8
	s_delay_alu instid0(VALU_DEP_3)
	v_lshl_add_u32 v48, v58, 2, v48
	v_add_nc_u32_e32 v52, v58, v56
	s_mov_b32 s7, exec_lo
	ds_load_b32 v53, v48
                                        ; implicit-def: $vgpr48
	s_waitcnt lgkmcnt(0)
	v_cmpx_nlt_f32_e32 v53, v49
	s_xor_b32 s7, exec_lo, s7
; %bb.37:                               ;   in Loop: Header=BB99_6 Depth=1
	v_cmp_eq_u32_e32 vcc_lo, 0, v54
                                        ; implicit-def: $vgpr51
                                        ; implicit-def: $vgpr50
	v_cndmask_b32_e32 v48, v55, v2, vcc_lo
	s_delay_alu instid0(VALU_DEP_1) | instskip(NEXT) | instid1(VALU_DEP_1)
	v_add_f32_e32 v48, v53, v48
                                        ; implicit-def: $vgpr53
	v_mul_f32_e32 v48, 0.5, v48
	s_delay_alu instid0(VALU_DEP_1)
	v_cmp_gt_f32_e32 vcc_lo, v48, v49
                                        ; implicit-def: $vgpr49
	v_cndmask_b32_e32 v48, v52, v54, vcc_lo
                                        ; implicit-def: $vgpr52
; %bb.38:                               ;   in Loop: Header=BB99_6 Depth=1
	s_and_not1_saveexec_b32 s7, s7
; %bb.39:                               ;   in Loop: Header=BB99_6 Depth=1
	v_cmp_eq_u32_e32 vcc_lo, 0xff, v51
	v_cndmask_b32_e32 v48, v50, v0, vcc_lo
	s_delay_alu instid0(VALU_DEP_1) | instskip(NEXT) | instid1(VALU_DEP_1)
	v_add_f32_e32 v48, v53, v48
	v_mul_f32_e32 v48, 0.5, v48
	s_delay_alu instid0(VALU_DEP_1)
	v_cmp_lt_f32_e32 vcc_lo, v48, v49
	v_cndmask_b32_e32 v48, v52, v51, vcc_lo
; %bb.40:                               ;   in Loop: Header=BB99_6 Depth=1
	s_or_b32 exec_lo, exec_lo, s7
	v_cvt_f32_f16_e32 v5, v5
	v_mov_b32_e32 v53, -16
	s_mov_b32 s9, exec_lo
	s_delay_alu instid0(VALU_DEP_2) | instskip(NEXT) | instid1(VALU_DEP_1)
	v_mul_f32_e32 v49, v1, v5
	v_cmp_lt_f32_e32 vcc_lo, v3, v49
	v_cndmask_b32_e64 v54, 63, 0xbf, vcc_lo
	v_cndmask_b32_e64 v50, 0, 0x7f, vcc_lo
	v_cndmask_b32_e32 v57, -1.0, v3, vcc_lo
	s_delay_alu instid0(VALU_DEP_3) | instskip(SKIP_4) | instid1(VALU_DEP_1)
	v_lshlrev_b32_e32 v5, 2, v54
	ds_load_b32 v56, v5 offset:3168
	v_add_nc_u32_e32 v5, 0xc60, v5
	s_waitcnt lgkmcnt(0)
	v_cmp_lt_f32_e64 s7, v56, v49
	v_cndmask_b32_e64 v51, 0xffffffe0, 32, s7
	v_cndmask_b32_e64 v55, v50, v54, s7
	;; [unrolled: 1-line block ×3, first 2 shown]
	s_delay_alu instid0(VALU_DEP_3)
	v_lshl_add_u32 v52, v51, 2, v5
	v_add_nc_u32_e32 v51, v54, v51
	ds_load_b32 v5, v52
	v_mov_b32_e32 v50, v51
	s_waitcnt lgkmcnt(0)
	v_cmpx_lt_f32_e32 v5, v49
; %bb.41:                               ;   in Loop: Header=BB99_6 Depth=1
	v_cndmask_b32_e64 v50, v3, 1.0, vcc_lo
	v_cndmask_b32_e32 v53, 0x7f, v46, vcc_lo
	v_mov_b32_e32 v55, v51
	v_mov_b32_e32 v57, v5
	s_delay_alu instid0(VALU_DEP_4) | instskip(NEXT) | instid1(VALU_DEP_4)
	v_cndmask_b32_e64 v56, v56, v50, s7
	v_cndmask_b32_e64 v50, v54, v53, s7
	v_mov_b32_e32 v53, 16
	s_delay_alu instid0(VALU_DEP_3)
	v_mov_b32_e32 v5, v56
; %bb.42:                               ;   in Loop: Header=BB99_6 Depth=1
	s_or_b32 exec_lo, exec_lo, s9
	s_delay_alu instid0(VALU_DEP_2)
	v_lshl_add_u32 v52, v53, 2, v52
	v_add_nc_u32_e32 v59, v53, v51
	s_mov_b32 s8, exec_lo
	ds_load_b32 v58, v52
	s_waitcnt lgkmcnt(0)
	v_cmp_lt_f32_e32 vcc_lo, v58, v49
	v_cndmask_b32_e64 v56, -8, 8, vcc_lo
	v_cndmask_b32_e32 v57, v57, v58, vcc_lo
	s_delay_alu instid0(VALU_DEP_2)
	v_lshl_add_u32 v54, v56, 2, v52
	v_dual_mov_b32 v56, -4 :: v_dual_add_nc_u32 v51, v56, v59
	v_cndmask_b32_e32 v55, v55, v59, vcc_lo
	ds_load_b32 v52, v54
	v_mov_b32_e32 v53, v51
	s_waitcnt lgkmcnt(0)
	v_cmpx_lt_f32_e32 v52, v49
; %bb.43:                               ;   in Loop: Header=BB99_6 Depth=1
	v_dual_cndmask_b32 v5, v58, v5 :: v_dual_mov_b32 v56, 4
	v_cndmask_b32_e32 v53, v59, v50, vcc_lo
	v_mov_b32_e32 v55, v51
	s_delay_alu instid0(VALU_DEP_3)
	v_dual_mov_b32 v57, v52 :: v_dual_mov_b32 v52, v5
; %bb.44:                               ;   in Loop: Header=BB99_6 Depth=1
	s_or_b32 exec_lo, exec_lo, s8
	v_lshl_add_u32 v5, v56, 2, v54
	v_add_nc_u32_e32 v60, v56, v51
	s_mov_b32 s8, exec_lo
	ds_load_b32 v59, v5
	s_waitcnt lgkmcnt(0)
	v_cmp_lt_f32_e32 vcc_lo, v59, v49
	v_cndmask_b32_e64 v54, -2, 2, vcc_lo
	s_delay_alu instid0(VALU_DEP_1)
	v_lshl_add_u32 v5, v54, 2, v5
	v_add_nc_u32_e32 v56, v54, v60
	v_dual_cndmask_b32 v54, v55, v60 :: v_dual_cndmask_b32 v55, v57, v59
	v_mov_b32_e32 v58, -1
	ds_load_b32 v50, v5
	v_mov_b32_e32 v51, v56
	s_waitcnt lgkmcnt(0)
	v_cmpx_lt_f32_e32 v50, v49
; %bb.45:                               ;   in Loop: Header=BB99_6 Depth=1
	v_dual_cndmask_b32 v52, v59, v52 :: v_dual_cndmask_b32 v51, v60, v53
	v_dual_mov_b32 v58, 1 :: v_dual_mov_b32 v55, v50
	v_mov_b32_e32 v54, v56
	s_delay_alu instid0(VALU_DEP_3)
	v_mov_b32_e32 v50, v52
; %bb.46:                               ;   in Loop: Header=BB99_6 Depth=1
	s_or_b32 exec_lo, exec_lo, s8
	s_delay_alu instid0(VALU_DEP_3)
	v_lshl_add_u32 v5, v58, 2, v5
	v_add_nc_u32_e32 v52, v58, v56
	s_mov_b32 s7, exec_lo
	ds_load_b32 v53, v5
                                        ; implicit-def: $vgpr5
	s_waitcnt lgkmcnt(0)
	v_cmpx_nlt_f32_e32 v53, v49
	s_xor_b32 s7, exec_lo, s7
; %bb.47:                               ;   in Loop: Header=BB99_6 Depth=1
	v_cmp_eq_u32_e32 vcc_lo, 0, v54
                                        ; implicit-def: $vgpr51
                                        ; implicit-def: $vgpr50
	v_cndmask_b32_e32 v5, v55, v2, vcc_lo
	s_delay_alu instid0(VALU_DEP_1) | instskip(NEXT) | instid1(VALU_DEP_1)
	v_add_f32_e32 v5, v53, v5
                                        ; implicit-def: $vgpr53
	v_mul_f32_e32 v5, 0.5, v5
	s_delay_alu instid0(VALU_DEP_1)
	v_cmp_gt_f32_e32 vcc_lo, v5, v49
                                        ; implicit-def: $vgpr49
	v_cndmask_b32_e32 v5, v52, v54, vcc_lo
                                        ; implicit-def: $vgpr52
; %bb.48:                               ;   in Loop: Header=BB99_6 Depth=1
	s_and_not1_saveexec_b32 s7, s7
; %bb.49:                               ;   in Loop: Header=BB99_6 Depth=1
	v_cmp_eq_u32_e32 vcc_lo, 0xff, v51
	v_cndmask_b32_e32 v5, v50, v0, vcc_lo
	s_delay_alu instid0(VALU_DEP_1) | instskip(NEXT) | instid1(VALU_DEP_1)
	v_add_f32_e32 v5, v53, v5
	v_mul_f32_e32 v5, 0.5, v5
	s_delay_alu instid0(VALU_DEP_1)
	v_cmp_lt_f32_e32 vcc_lo, v5, v49
	v_cndmask_b32_e32 v5, v52, v51, vcc_lo
; %bb.50:                               ;   in Loop: Header=BB99_6 Depth=1
	s_or_b32 exec_lo, exec_lo, s7
	v_cvt_f32_f16_e32 v47, v47
	s_mov_b32 s9, exec_lo
	s_delay_alu instid0(VALU_DEP_1) | instskip(NEXT) | instid1(VALU_DEP_1)
	v_dual_mov_b32 v52, -16 :: v_dual_mul_f32 v1, v1, v47
	v_cmp_lt_f32_e32 vcc_lo, v3, v1
	v_cndmask_b32_e64 v54, 63, 0xbf, vcc_lo
	v_cndmask_b32_e64 v50, 0, 0x7f, vcc_lo
	s_delay_alu instid0(VALU_DEP_2) | instskip(SKIP_4) | instid1(VALU_DEP_1)
	v_dual_cndmask_b32 v56, -1.0, v3 :: v_dual_lshlrev_b32 v47, 2, v54
	ds_load_b32 v55, v47 offset:3168
	v_add_nc_u32_e32 v47, 0xc60, v47
	s_waitcnt lgkmcnt(0)
	v_cmp_lt_f32_e64 s7, v55, v1
	v_cndmask_b32_e64 v51, 0xffffffe0, 32, s7
	v_cndmask_b32_e64 v53, v50, v54, s7
	;; [unrolled: 1-line block ×3, first 2 shown]
	s_delay_alu instid0(VALU_DEP_3)
	v_lshl_add_u32 v49, v51, 2, v47
	v_add_nc_u32_e32 v51, v54, v51
	ds_load_b32 v47, v49
	v_mov_b32_e32 v50, v51
	s_waitcnt lgkmcnt(0)
	v_cmpx_lt_f32_e32 v47, v1
; %bb.51:                               ;   in Loop: Header=BB99_6 Depth=1
	v_cndmask_b32_e64 v3, v3, 1.0, vcc_lo
	v_dual_cndmask_b32 v50, 0x7f, v46 :: v_dual_mov_b32 v53, v51
	v_mov_b32_e32 v56, v47
	s_delay_alu instid0(VALU_DEP_3) | instskip(NEXT) | instid1(VALU_DEP_3)
	v_cndmask_b32_e64 v3, v55, v3, s7
	v_cndmask_b32_e64 v50, v54, v50, s7
	s_delay_alu instid0(VALU_DEP_2)
	v_dual_mov_b32 v52, 16 :: v_dual_mov_b32 v47, v3
; %bb.52:                               ;   in Loop: Header=BB99_6 Depth=1
	s_or_b32 exec_lo, exec_lo, s9
	s_delay_alu instid0(VALU_DEP_1)
	v_lshl_add_u32 v3, v52, 2, v49
	v_add_nc_u32_e32 v58, v52, v51
	s_mov_b32 s8, exec_lo
	ds_load_b32 v57, v3
	s_waitcnt lgkmcnt(0)
	v_cmp_lt_f32_e32 vcc_lo, v57, v1
	v_cndmask_b32_e64 v54, -8, 8, vcc_lo
	v_dual_cndmask_b32 v56, v56, v57 :: v_dual_cndmask_b32 v55, v53, v58
	s_delay_alu instid0(VALU_DEP_2)
	v_lshl_add_u32 v3, v54, 2, v3
	v_add_nc_u32_e32 v52, v54, v58
	v_mov_b32_e32 v54, -4
	ds_load_b32 v49, v3
	v_mov_b32_e32 v51, v52
	s_waitcnt lgkmcnt(0)
	v_cmpx_lt_f32_e32 v49, v1
; %bb.53:                               ;   in Loop: Header=BB99_6 Depth=1
	v_dual_cndmask_b32 v47, v57, v47 :: v_dual_mov_b32 v54, 4
	v_dual_cndmask_b32 v51, v58, v50 :: v_dual_mov_b32 v56, v49
	v_mov_b32_e32 v55, v52
	s_delay_alu instid0(VALU_DEP_3)
	v_mov_b32_e32 v49, v47
; %bb.54:                               ;   in Loop: Header=BB99_6 Depth=1
	s_or_b32 exec_lo, exec_lo, s8
	v_lshl_add_u32 v3, v54, 2, v3
	s_mov_b32 s8, exec_lo
	v_mov_b32_e32 v57, -1
	ds_load_b32 v58, v3
	s_waitcnt lgkmcnt(0)
	v_cmp_lt_f32_e32 vcc_lo, v58, v1
	v_dual_cndmask_b32 v52, v56, v58 :: v_dual_add_nc_u32 v59, v54, v52
	v_cndmask_b32_e64 v47, -2, 2, vcc_lo
	s_delay_alu instid0(VALU_DEP_1) | instskip(NEXT) | instid1(VALU_DEP_3)
	v_lshl_add_u32 v53, v47, 2, v3
	v_add_nc_u32_e32 v54, v47, v59
	v_cndmask_b32_e32 v50, v55, v59, vcc_lo
	ds_load_b32 v3, v53
	v_mov_b32_e32 v47, v54
	s_waitcnt lgkmcnt(0)
	v_cmpx_lt_f32_e32 v3, v1
; %bb.55:                               ;   in Loop: Header=BB99_6 Depth=1
	v_dual_cndmask_b32 v49, v58, v49 :: v_dual_mov_b32 v52, v3
	v_dual_cndmask_b32 v47, v59, v51 :: v_dual_mov_b32 v50, v54
	v_mov_b32_e32 v57, 1
	s_delay_alu instid0(VALU_DEP_3)
	v_mov_b32_e32 v3, v49
; %bb.56:                               ;   in Loop: Header=BB99_6 Depth=1
	s_or_b32 exec_lo, exec_lo, s8
	s_delay_alu instid0(VALU_DEP_2)
	v_lshl_add_u32 v49, v57, 2, v53
	v_add_nc_u32_e32 v51, v57, v54
	s_mov_b32 s7, exec_lo
	ds_load_b32 v53, v49
                                        ; implicit-def: $vgpr49
	s_waitcnt lgkmcnt(0)
	v_cmpx_nlt_f32_e32 v53, v1
	s_xor_b32 s7, exec_lo, s7
; %bb.57:                               ;   in Loop: Header=BB99_6 Depth=1
	v_cmp_eq_u32_e32 vcc_lo, 0, v50
                                        ; implicit-def: $vgpr47
                                        ; implicit-def: $vgpr3
	v_cndmask_b32_e32 v0, v52, v2, vcc_lo
	s_delay_alu instid0(VALU_DEP_1) | instskip(NEXT) | instid1(VALU_DEP_1)
	v_add_f32_e32 v0, v53, v0
                                        ; implicit-def: $vgpr53
	v_mul_f32_e32 v0, 0.5, v0
	s_delay_alu instid0(VALU_DEP_1)
	v_cmp_gt_f32_e32 vcc_lo, v0, v1
                                        ; implicit-def: $vgpr0_vgpr1
                                        ; implicit-def: $vgpr1
	v_cndmask_b32_e32 v49, v51, v50, vcc_lo
                                        ; implicit-def: $vgpr51
; %bb.58:                               ;   in Loop: Header=BB99_6 Depth=1
	s_and_not1_saveexec_b32 s7, s7
; %bb.59:                               ;   in Loop: Header=BB99_6 Depth=1
	v_cmp_eq_u32_e32 vcc_lo, 0xff, v47
	v_cndmask_b32_e32 v0, v3, v0, vcc_lo
	s_delay_alu instid0(VALU_DEP_1) | instskip(NEXT) | instid1(VALU_DEP_1)
	v_add_f32_e32 v0, v53, v0
	v_mul_f32_e32 v0, 0.5, v0
	s_delay_alu instid0(VALU_DEP_1)
	v_cmp_lt_f32_e32 vcc_lo, v0, v1
	v_cndmask_b32_e32 v49, v51, v47, vcc_lo
; %bb.60:                               ;   in Loop: Header=BB99_6 Depth=1
	s_or_b32 exec_lo, exec_lo, s7
	s_barrier
	buffer_gl0_inv
	ds_store_b8 v38, v4 offset:2112
	ds_store_b8 v38, v48 offset:2113
	;; [unrolled: 1-line block ×4, first 2 shown]
	; wave barrier
	ds_load_u8 v4, v13 offset:2112
	ds_load_u8 v3, v39 offset:2112
	;; [unrolled: 1-line block ×3, first 2 shown]
	v_add_co_u32 v0, vcc_lo, v41, s16
	v_add_co_ci_u32_e32 v1, vcc_lo, s17, v42, vcc_lo
	s_and_saveexec_b32 s7, s3
	s_delay_alu instid0(SALU_CYCLE_1)
	s_xor_b32 s3, exec_lo, s7
	s_cbranch_execnz .LBB99_64
; %bb.61:                               ;   in Loop: Header=BB99_6 Depth=1
	s_or_b32 exec_lo, exec_lo, s3
	s_and_saveexec_b32 s3, s4
	s_cbranch_execnz .LBB99_65
.LBB99_62:                              ;   in Loop: Header=BB99_6 Depth=1
	s_or_b32 exec_lo, exec_lo, s3
	s_and_saveexec_b32 s3, s5
	s_cbranch_execnz .LBB99_66
.LBB99_63:                              ;   in Loop: Header=BB99_6 Depth=1
	s_or_b32 exec_lo, exec_lo, s3
	s_and_saveexec_b32 s3, s6
	s_cbranch_execz .LBB99_5
	s_branch .LBB99_67
.LBB99_64:                              ;   in Loop: Header=BB99_6 Depth=1
	ds_load_u8 v5, v12 offset:2112
	s_waitcnt lgkmcnt(0)
	global_store_b8 v[0:1], v5, off
	s_or_b32 exec_lo, exec_lo, s3
	s_and_saveexec_b32 s3, s4
	s_cbranch_execz .LBB99_62
.LBB99_65:                              ;   in Loop: Header=BB99_6 Depth=1
	s_waitcnt lgkmcnt(2)
	global_store_b8 v[0:1], v4, off offset:32
	s_or_b32 exec_lo, exec_lo, s3
	s_and_saveexec_b32 s3, s5
	s_cbranch_execz .LBB99_63
.LBB99_66:                              ;   in Loop: Header=BB99_6 Depth=1
	s_waitcnt lgkmcnt(1)
	global_store_b8 v[0:1], v3, off offset:64
	s_or_b32 exec_lo, exec_lo, s3
	s_and_saveexec_b32 s3, s6
	s_cbranch_execz .LBB99_5
.LBB99_67:                              ;   in Loop: Header=BB99_6 Depth=1
	s_waitcnt lgkmcnt(0)
	global_store_b8 v[0:1], v2, off offset:96
	s_branch .LBB99_5
.LBB99_68:
	s_nop 0
	s_sendmsg sendmsg(MSG_DEALLOC_VGPRS)
	s_endpgm
	.section	.rodata,"a",@progbits
	.p2align	6, 0x0
	.amdhsa_kernel _Z18kQuantizeBlockwiseI6__halfLi1024ELi4ELi0ELi0EEvPfPT_S1_PhS1_ii
		.amdhsa_group_segment_fixed_size 4228
		.amdhsa_private_segment_fixed_size 0
		.amdhsa_kernarg_size 304
		.amdhsa_user_sgpr_count 15
		.amdhsa_user_sgpr_dispatch_ptr 0
		.amdhsa_user_sgpr_queue_ptr 0
		.amdhsa_user_sgpr_kernarg_segment_ptr 1
		.amdhsa_user_sgpr_dispatch_id 0
		.amdhsa_user_sgpr_private_segment_size 0
		.amdhsa_wavefront_size32 1
		.amdhsa_uses_dynamic_stack 0
		.amdhsa_enable_private_segment 0
		.amdhsa_system_sgpr_workgroup_id_x 1
		.amdhsa_system_sgpr_workgroup_id_y 0
		.amdhsa_system_sgpr_workgroup_id_z 0
		.amdhsa_system_sgpr_workgroup_info 0
		.amdhsa_system_vgpr_workitem_id 0
		.amdhsa_next_free_vgpr 61
		.amdhsa_next_free_sgpr 19
		.amdhsa_reserve_vcc 1
		.amdhsa_float_round_mode_32 0
		.amdhsa_float_round_mode_16_64 0
		.amdhsa_float_denorm_mode_32 3
		.amdhsa_float_denorm_mode_16_64 3
		.amdhsa_dx10_clamp 1
		.amdhsa_ieee_mode 1
		.amdhsa_fp16_overflow 0
		.amdhsa_workgroup_processor_mode 1
		.amdhsa_memory_ordered 1
		.amdhsa_forward_progress 0
		.amdhsa_shared_vgpr_count 0
		.amdhsa_exception_fp_ieee_invalid_op 0
		.amdhsa_exception_fp_denorm_src 0
		.amdhsa_exception_fp_ieee_div_zero 0
		.amdhsa_exception_fp_ieee_overflow 0
		.amdhsa_exception_fp_ieee_underflow 0
		.amdhsa_exception_fp_ieee_inexact 0
		.amdhsa_exception_int_div_zero 0
	.end_amdhsa_kernel
	.section	.text._Z18kQuantizeBlockwiseI6__halfLi1024ELi4ELi0ELi0EEvPfPT_S1_PhS1_ii,"axG",@progbits,_Z18kQuantizeBlockwiseI6__halfLi1024ELi4ELi0ELi0EEvPfPT_S1_PhS1_ii,comdat
.Lfunc_end99:
	.size	_Z18kQuantizeBlockwiseI6__halfLi1024ELi4ELi0ELi0EEvPfPT_S1_PhS1_ii, .Lfunc_end99-_Z18kQuantizeBlockwiseI6__halfLi1024ELi4ELi0ELi0EEvPfPT_S1_PhS1_ii
                                        ; -- End function
	.section	.AMDGPU.csdata,"",@progbits
; Kernel info:
; codeLenInByte = 4288
; NumSgprs: 21
; NumVgprs: 61
; ScratchSize: 0
; MemoryBound: 0
; FloatMode: 240
; IeeeMode: 1
; LDSByteSize: 4228 bytes/workgroup (compile time only)
; SGPRBlocks: 2
; VGPRBlocks: 7
; NumSGPRsForWavesPerEU: 21
; NumVGPRsForWavesPerEU: 61
; Occupancy: 16
; WaveLimiterHint : 0
; COMPUTE_PGM_RSRC2:SCRATCH_EN: 0
; COMPUTE_PGM_RSRC2:USER_SGPR: 15
; COMPUTE_PGM_RSRC2:TRAP_HANDLER: 0
; COMPUTE_PGM_RSRC2:TGID_X_EN: 1
; COMPUTE_PGM_RSRC2:TGID_Y_EN: 0
; COMPUTE_PGM_RSRC2:TGID_Z_EN: 0
; COMPUTE_PGM_RSRC2:TIDIG_COMP_CNT: 0
	.section	.text._Z18kQuantizeBlockwiseI6__halfLi512ELi2ELi0ELi0EEvPfPT_S1_PhS1_ii,"axG",@progbits,_Z18kQuantizeBlockwiseI6__halfLi512ELi2ELi0ELi0EEvPfPT_S1_PhS1_ii,comdat
